;; amdgpu-corpus repo=ROCm/rocFFT kind=compiled arch=gfx1100 opt=O3
	.text
	.amdgcn_target "amdgcn-amd-amdhsa--gfx1100"
	.amdhsa_code_object_version 6
	.protected	fft_rtc_fwd_len2187_factors_3_3_3_3_3_3_3_wgs_243_tpt_243_halfLds_sp_ip_CI_sbrr_dirReg ; -- Begin function fft_rtc_fwd_len2187_factors_3_3_3_3_3_3_3_wgs_243_tpt_243_halfLds_sp_ip_CI_sbrr_dirReg
	.globl	fft_rtc_fwd_len2187_factors_3_3_3_3_3_3_3_wgs_243_tpt_243_halfLds_sp_ip_CI_sbrr_dirReg
	.p2align	8
	.type	fft_rtc_fwd_len2187_factors_3_3_3_3_3_3_3_wgs_243_tpt_243_halfLds_sp_ip_CI_sbrr_dirReg,@function
fft_rtc_fwd_len2187_factors_3_3_3_3_3_3_3_wgs_243_tpt_243_halfLds_sp_ip_CI_sbrr_dirReg: ; @fft_rtc_fwd_len2187_factors_3_3_3_3_3_3_3_wgs_243_tpt_243_halfLds_sp_ip_CI_sbrr_dirReg
; %bb.0:
	s_clause 0x2
	s_load_b64 s[12:13], s[0:1], 0x18
	s_load_b128 s[4:7], s[0:1], 0x0
	s_load_b64 s[10:11], s[0:1], 0x50
	v_mul_u32_u24_e32 v1, 0x10e, v0
	v_mov_b32_e32 v3, 0
	v_mov_b32_e32 v4, 0
	s_delay_alu instid0(VALU_DEP_3) | instskip(SKIP_1) | instid1(VALU_DEP_1)
	v_lshrrev_b32_e32 v2, 16, v1
	v_mov_b32_e32 v1, 0
	v_dual_mov_b32 v6, v1 :: v_dual_add_nc_u32 v5, s15, v2
	s_waitcnt lgkmcnt(0)
	s_load_b64 s[8:9], s[12:13], 0x0
	v_cmp_lt_u64_e64 s2, s[6:7], 2
	s_delay_alu instid0(VALU_DEP_1)
	s_and_b32 vcc_lo, exec_lo, s2
	s_cbranch_vccnz .LBB0_8
; %bb.1:
	s_load_b64 s[2:3], s[0:1], 0x10
	v_mov_b32_e32 v3, 0
	s_add_u32 s14, s12, 8
	v_mov_b32_e32 v4, 0
	s_addc_u32 s15, s13, 0
	s_mov_b64 s[18:19], 1
	s_waitcnt lgkmcnt(0)
	s_add_u32 s16, s2, 8
	s_addc_u32 s17, s3, 0
.LBB0_2:                                ; =>This Inner Loop Header: Depth=1
	s_load_b64 s[20:21], s[16:17], 0x0
                                        ; implicit-def: $vgpr7_vgpr8
	s_mov_b32 s2, exec_lo
	s_waitcnt lgkmcnt(0)
	v_or_b32_e32 v2, s21, v6
	s_delay_alu instid0(VALU_DEP_1)
	v_cmpx_ne_u64_e32 0, v[1:2]
	s_xor_b32 s3, exec_lo, s2
	s_cbranch_execz .LBB0_4
; %bb.3:                                ;   in Loop: Header=BB0_2 Depth=1
	v_cvt_f32_u32_e32 v2, s20
	v_cvt_f32_u32_e32 v7, s21
	s_sub_u32 s2, 0, s20
	s_subb_u32 s22, 0, s21
	s_delay_alu instid0(VALU_DEP_1) | instskip(NEXT) | instid1(VALU_DEP_1)
	v_fmac_f32_e32 v2, 0x4f800000, v7
	v_rcp_f32_e32 v2, v2
	s_waitcnt_depctr 0xfff
	v_mul_f32_e32 v2, 0x5f7ffffc, v2
	s_delay_alu instid0(VALU_DEP_1) | instskip(NEXT) | instid1(VALU_DEP_1)
	v_mul_f32_e32 v7, 0x2f800000, v2
	v_trunc_f32_e32 v7, v7
	s_delay_alu instid0(VALU_DEP_1) | instskip(SKIP_1) | instid1(VALU_DEP_2)
	v_fmac_f32_e32 v2, 0xcf800000, v7
	v_cvt_u32_f32_e32 v7, v7
	v_cvt_u32_f32_e32 v2, v2
	s_delay_alu instid0(VALU_DEP_2) | instskip(NEXT) | instid1(VALU_DEP_2)
	v_mul_lo_u32 v8, s2, v7
	v_mul_hi_u32 v9, s2, v2
	v_mul_lo_u32 v10, s22, v2
	s_delay_alu instid0(VALU_DEP_2) | instskip(SKIP_1) | instid1(VALU_DEP_2)
	v_add_nc_u32_e32 v8, v9, v8
	v_mul_lo_u32 v9, s2, v2
	v_add_nc_u32_e32 v8, v8, v10
	s_delay_alu instid0(VALU_DEP_2) | instskip(NEXT) | instid1(VALU_DEP_2)
	v_mul_hi_u32 v10, v2, v9
	v_mul_lo_u32 v11, v2, v8
	v_mul_hi_u32 v12, v2, v8
	v_mul_hi_u32 v13, v7, v9
	v_mul_lo_u32 v9, v7, v9
	v_mul_hi_u32 v14, v7, v8
	v_mul_lo_u32 v8, v7, v8
	v_add_co_u32 v10, vcc_lo, v10, v11
	v_add_co_ci_u32_e32 v11, vcc_lo, 0, v12, vcc_lo
	s_delay_alu instid0(VALU_DEP_2) | instskip(NEXT) | instid1(VALU_DEP_2)
	v_add_co_u32 v9, vcc_lo, v10, v9
	v_add_co_ci_u32_e32 v9, vcc_lo, v11, v13, vcc_lo
	v_add_co_ci_u32_e32 v10, vcc_lo, 0, v14, vcc_lo
	s_delay_alu instid0(VALU_DEP_2) | instskip(NEXT) | instid1(VALU_DEP_2)
	v_add_co_u32 v8, vcc_lo, v9, v8
	v_add_co_ci_u32_e32 v9, vcc_lo, 0, v10, vcc_lo
	s_delay_alu instid0(VALU_DEP_2) | instskip(NEXT) | instid1(VALU_DEP_2)
	v_add_co_u32 v2, vcc_lo, v2, v8
	v_add_co_ci_u32_e32 v7, vcc_lo, v7, v9, vcc_lo
	s_delay_alu instid0(VALU_DEP_2) | instskip(SKIP_1) | instid1(VALU_DEP_3)
	v_mul_hi_u32 v8, s2, v2
	v_mul_lo_u32 v10, s22, v2
	v_mul_lo_u32 v9, s2, v7
	s_delay_alu instid0(VALU_DEP_1) | instskip(SKIP_1) | instid1(VALU_DEP_2)
	v_add_nc_u32_e32 v8, v8, v9
	v_mul_lo_u32 v9, s2, v2
	v_add_nc_u32_e32 v8, v8, v10
	s_delay_alu instid0(VALU_DEP_2) | instskip(NEXT) | instid1(VALU_DEP_2)
	v_mul_hi_u32 v10, v2, v9
	v_mul_lo_u32 v11, v2, v8
	v_mul_hi_u32 v12, v2, v8
	v_mul_hi_u32 v13, v7, v9
	v_mul_lo_u32 v9, v7, v9
	v_mul_hi_u32 v14, v7, v8
	v_mul_lo_u32 v8, v7, v8
	v_add_co_u32 v10, vcc_lo, v10, v11
	v_add_co_ci_u32_e32 v11, vcc_lo, 0, v12, vcc_lo
	s_delay_alu instid0(VALU_DEP_2) | instskip(NEXT) | instid1(VALU_DEP_2)
	v_add_co_u32 v9, vcc_lo, v10, v9
	v_add_co_ci_u32_e32 v9, vcc_lo, v11, v13, vcc_lo
	v_add_co_ci_u32_e32 v10, vcc_lo, 0, v14, vcc_lo
	s_delay_alu instid0(VALU_DEP_2) | instskip(NEXT) | instid1(VALU_DEP_2)
	v_add_co_u32 v8, vcc_lo, v9, v8
	v_add_co_ci_u32_e32 v9, vcc_lo, 0, v10, vcc_lo
	s_delay_alu instid0(VALU_DEP_2) | instskip(NEXT) | instid1(VALU_DEP_2)
	v_add_co_u32 v2, vcc_lo, v2, v8
	v_add_co_ci_u32_e32 v13, vcc_lo, v7, v9, vcc_lo
	s_delay_alu instid0(VALU_DEP_2) | instskip(SKIP_1) | instid1(VALU_DEP_3)
	v_mul_hi_u32 v14, v5, v2
	v_mad_u64_u32 v[9:10], null, v6, v2, 0
	v_mad_u64_u32 v[7:8], null, v5, v13, 0
	;; [unrolled: 1-line block ×3, first 2 shown]
	s_delay_alu instid0(VALU_DEP_2) | instskip(NEXT) | instid1(VALU_DEP_3)
	v_add_co_u32 v2, vcc_lo, v14, v7
	v_add_co_ci_u32_e32 v7, vcc_lo, 0, v8, vcc_lo
	s_delay_alu instid0(VALU_DEP_2) | instskip(NEXT) | instid1(VALU_DEP_2)
	v_add_co_u32 v2, vcc_lo, v2, v9
	v_add_co_ci_u32_e32 v2, vcc_lo, v7, v10, vcc_lo
	v_add_co_ci_u32_e32 v7, vcc_lo, 0, v12, vcc_lo
	s_delay_alu instid0(VALU_DEP_2) | instskip(NEXT) | instid1(VALU_DEP_2)
	v_add_co_u32 v2, vcc_lo, v2, v11
	v_add_co_ci_u32_e32 v9, vcc_lo, 0, v7, vcc_lo
	s_delay_alu instid0(VALU_DEP_2) | instskip(SKIP_1) | instid1(VALU_DEP_3)
	v_mul_lo_u32 v10, s21, v2
	v_mad_u64_u32 v[7:8], null, s20, v2, 0
	v_mul_lo_u32 v11, s20, v9
	s_delay_alu instid0(VALU_DEP_2) | instskip(NEXT) | instid1(VALU_DEP_2)
	v_sub_co_u32 v7, vcc_lo, v5, v7
	v_add3_u32 v8, v8, v11, v10
	s_delay_alu instid0(VALU_DEP_1) | instskip(NEXT) | instid1(VALU_DEP_1)
	v_sub_nc_u32_e32 v10, v6, v8
	v_subrev_co_ci_u32_e64 v10, s2, s21, v10, vcc_lo
	v_add_co_u32 v11, s2, v2, 2
	s_delay_alu instid0(VALU_DEP_1) | instskip(SKIP_3) | instid1(VALU_DEP_3)
	v_add_co_ci_u32_e64 v12, s2, 0, v9, s2
	v_sub_co_u32 v13, s2, v7, s20
	v_sub_co_ci_u32_e32 v8, vcc_lo, v6, v8, vcc_lo
	v_subrev_co_ci_u32_e64 v10, s2, 0, v10, s2
	v_cmp_le_u32_e32 vcc_lo, s20, v13
	s_delay_alu instid0(VALU_DEP_3) | instskip(SKIP_1) | instid1(VALU_DEP_4)
	v_cmp_eq_u32_e64 s2, s21, v8
	v_cndmask_b32_e64 v13, 0, -1, vcc_lo
	v_cmp_le_u32_e32 vcc_lo, s21, v10
	v_cndmask_b32_e64 v14, 0, -1, vcc_lo
	v_cmp_le_u32_e32 vcc_lo, s20, v7
	;; [unrolled: 2-line block ×3, first 2 shown]
	v_cndmask_b32_e64 v15, 0, -1, vcc_lo
	v_cmp_eq_u32_e32 vcc_lo, s21, v10
	s_delay_alu instid0(VALU_DEP_2) | instskip(SKIP_3) | instid1(VALU_DEP_3)
	v_cndmask_b32_e64 v7, v15, v7, s2
	v_cndmask_b32_e32 v10, v14, v13, vcc_lo
	v_add_co_u32 v13, vcc_lo, v2, 1
	v_add_co_ci_u32_e32 v14, vcc_lo, 0, v9, vcc_lo
	v_cmp_ne_u32_e32 vcc_lo, 0, v10
	s_delay_alu instid0(VALU_DEP_2) | instskip(NEXT) | instid1(VALU_DEP_4)
	v_cndmask_b32_e32 v8, v14, v12, vcc_lo
	v_cndmask_b32_e32 v10, v13, v11, vcc_lo
	v_cmp_ne_u32_e32 vcc_lo, 0, v7
	s_delay_alu instid0(VALU_DEP_2)
	v_dual_cndmask_b32 v7, v2, v10 :: v_dual_cndmask_b32 v8, v9, v8
.LBB0_4:                                ;   in Loop: Header=BB0_2 Depth=1
	s_and_not1_saveexec_b32 s2, s3
	s_cbranch_execz .LBB0_6
; %bb.5:                                ;   in Loop: Header=BB0_2 Depth=1
	v_cvt_f32_u32_e32 v2, s20
	s_sub_i32 s3, 0, s20
	s_delay_alu instid0(VALU_DEP_1) | instskip(SKIP_2) | instid1(VALU_DEP_1)
	v_rcp_iflag_f32_e32 v2, v2
	s_waitcnt_depctr 0xfff
	v_mul_f32_e32 v2, 0x4f7ffffe, v2
	v_cvt_u32_f32_e32 v2, v2
	s_delay_alu instid0(VALU_DEP_1) | instskip(NEXT) | instid1(VALU_DEP_1)
	v_mul_lo_u32 v7, s3, v2
	v_mul_hi_u32 v7, v2, v7
	s_delay_alu instid0(VALU_DEP_1) | instskip(NEXT) | instid1(VALU_DEP_1)
	v_add_nc_u32_e32 v2, v2, v7
	v_mul_hi_u32 v2, v5, v2
	s_delay_alu instid0(VALU_DEP_1) | instskip(SKIP_1) | instid1(VALU_DEP_2)
	v_mul_lo_u32 v7, v2, s20
	v_add_nc_u32_e32 v8, 1, v2
	v_sub_nc_u32_e32 v7, v5, v7
	s_delay_alu instid0(VALU_DEP_1) | instskip(SKIP_1) | instid1(VALU_DEP_2)
	v_subrev_nc_u32_e32 v9, s20, v7
	v_cmp_le_u32_e32 vcc_lo, s20, v7
	v_dual_cndmask_b32 v7, v7, v9 :: v_dual_cndmask_b32 v2, v2, v8
	s_delay_alu instid0(VALU_DEP_1) | instskip(NEXT) | instid1(VALU_DEP_2)
	v_cmp_le_u32_e32 vcc_lo, s20, v7
	v_add_nc_u32_e32 v8, 1, v2
	s_delay_alu instid0(VALU_DEP_1)
	v_dual_cndmask_b32 v7, v2, v8 :: v_dual_mov_b32 v8, v1
.LBB0_6:                                ;   in Loop: Header=BB0_2 Depth=1
	s_or_b32 exec_lo, exec_lo, s2
	s_load_b64 s[2:3], s[14:15], 0x0
	s_delay_alu instid0(VALU_DEP_1) | instskip(NEXT) | instid1(VALU_DEP_2)
	v_mul_lo_u32 v2, v8, s20
	v_mul_lo_u32 v11, v7, s21
	v_mad_u64_u32 v[9:10], null, v7, s20, 0
	s_add_u32 s18, s18, 1
	s_addc_u32 s19, s19, 0
	s_add_u32 s14, s14, 8
	s_addc_u32 s15, s15, 0
	;; [unrolled: 2-line block ×3, first 2 shown]
	s_delay_alu instid0(VALU_DEP_1) | instskip(SKIP_1) | instid1(VALU_DEP_2)
	v_add3_u32 v2, v10, v11, v2
	v_sub_co_u32 v9, vcc_lo, v5, v9
	v_sub_co_ci_u32_e32 v2, vcc_lo, v6, v2, vcc_lo
	s_waitcnt lgkmcnt(0)
	s_delay_alu instid0(VALU_DEP_2) | instskip(NEXT) | instid1(VALU_DEP_2)
	v_mul_lo_u32 v10, s3, v9
	v_mul_lo_u32 v2, s2, v2
	v_mad_u64_u32 v[5:6], null, s2, v9, v[3:4]
	v_cmp_ge_u64_e64 s2, s[18:19], s[6:7]
	s_delay_alu instid0(VALU_DEP_1) | instskip(NEXT) | instid1(VALU_DEP_2)
	s_and_b32 vcc_lo, exec_lo, s2
	v_add3_u32 v4, v10, v6, v2
	s_delay_alu instid0(VALU_DEP_3)
	v_mov_b32_e32 v3, v5
	s_cbranch_vccnz .LBB0_9
; %bb.7:                                ;   in Loop: Header=BB0_2 Depth=1
	v_dual_mov_b32 v5, v7 :: v_dual_mov_b32 v6, v8
	s_branch .LBB0_2
.LBB0_8:
	v_dual_mov_b32 v8, v6 :: v_dual_mov_b32 v7, v5
.LBB0_9:
	s_lshl_b64 s[2:3], s[6:7], 3
	v_mul_hi_u32 v1, 0x10db20b, v0
	s_add_u32 s2, s12, s2
	s_addc_u32 s3, s13, s3
                                        ; implicit-def: $vgpr27
                                        ; implicit-def: $vgpr28
	s_load_b64 s[2:3], s[2:3], 0x0
	s_load_b64 s[0:1], s[0:1], 0x20
	s_delay_alu instid0(VALU_DEP_1) | instskip(NEXT) | instid1(VALU_DEP_1)
	v_mul_u32_u24_e32 v5, 0xf3, v1
	v_sub_nc_u32_e32 v21, v0, v5
	s_delay_alu instid0(VALU_DEP_1)
	v_add_nc_u32_e32 v20, 0xf3, v21
	v_add_nc_u32_e32 v22, 0x1e6, v21
	s_waitcnt lgkmcnt(0)
	v_mul_lo_u32 v6, s2, v8
	v_mul_lo_u32 v9, s3, v7
	v_mad_u64_u32 v[1:2], null, s2, v7, v[3:4]
	v_cmp_gt_u64_e32 vcc_lo, s[0:1], v[7:8]
	v_cmp_le_u64_e64 s0, s[0:1], v[7:8]
	s_delay_alu instid0(VALU_DEP_3) | instskip(NEXT) | instid1(VALU_DEP_2)
	v_add3_u32 v2, v9, v2, v6
	s_and_saveexec_b32 s1, s0
	s_delay_alu instid0(SALU_CYCLE_1)
	s_xor_b32 s0, exec_lo, s1
; %bb.10:
	v_add_nc_u32_e32 v27, 0xf3, v21
	v_add_nc_u32_e32 v28, 0x1e6, v21
; %bb.11:
	s_or_saveexec_b32 s1, s0
	v_lshlrev_b64 v[0:1], 3, v[1:2]
	v_add_nc_u32_e32 v25, 0x2d9, v21
	v_add_nc_u32_e32 v26, 0x5b2, v21
	;; [unrolled: 1-line block ×4, first 2 shown]
                                        ; implicit-def: $vgpr11
                                        ; implicit-def: $vgpr9
                                        ; implicit-def: $vgpr7
                                        ; implicit-def: $vgpr13
                                        ; implicit-def: $vgpr15
                                        ; implicit-def: $vgpr3
                                        ; implicit-def: $vgpr17
                                        ; implicit-def: $vgpr19
                                        ; implicit-def: $vgpr5
	s_xor_b32 exec_lo, exec_lo, s1
	s_cbranch_execz .LBB0_13
; %bb.12:
	v_mad_u64_u32 v[2:3], null, s8, v21, 0
	v_mad_u64_u32 v[4:5], null, s8, v25, 0
	;; [unrolled: 1-line block ×3, first 2 shown]
	v_add_co_u32 v34, s0, s10, v0
	s_delay_alu instid0(VALU_DEP_1) | instskip(NEXT) | instid1(VALU_DEP_4)
	v_add_co_ci_u32_e64 v35, s0, s11, v1, s0
	v_mad_u64_u32 v[6:7], null, s9, v21, v[3:4]
	v_mad_u64_u32 v[7:8], null, s8, v26, 0
	v_dual_mov_b32 v3, v5 :: v_dual_add_nc_u32 v36, 0x4bf, v21
	s_delay_alu instid0(VALU_DEP_1) | instskip(NEXT) | instid1(VALU_DEP_3)
	v_mad_u64_u32 v[11:12], null, s9, v25, v[3:4]
	v_dual_mov_b32 v3, v6 :: v_dual_mov_b32 v6, v8
	v_mov_b32_e32 v8, v10
	s_delay_alu instid0(VALU_DEP_4) | instskip(NEXT) | instid1(VALU_DEP_4)
	v_mad_u64_u32 v[29:30], null, s8, v36, 0
	v_mov_b32_e32 v5, v11
	s_delay_alu instid0(VALU_DEP_4) | instskip(NEXT) | instid1(VALU_DEP_4)
	v_mad_u64_u32 v[10:11], null, s9, v26, v[6:7]
	v_mad_u64_u32 v[11:12], null, s9, v20, v[8:9]
	s_delay_alu instid0(VALU_DEP_3) | instskip(SKIP_1) | instid1(VALU_DEP_4)
	v_lshlrev_b64 v[4:5], 3, v[4:5]
	v_mad_u64_u32 v[12:13], null, s8, v23, 0
	v_mov_b32_e32 v8, v10
	s_delay_alu instid0(VALU_DEP_4) | instskip(SKIP_1) | instid1(VALU_DEP_4)
	v_mov_b32_e32 v10, v11
	v_lshlrev_b64 v[2:3], 3, v[2:3]
	v_mov_b32_e32 v6, v13
	s_delay_alu instid0(VALU_DEP_2) | instskip(NEXT) | instid1(VALU_DEP_1)
	v_add_co_u32 v2, s0, v34, v2
	v_add_co_ci_u32_e64 v3, s0, v35, v3, s0
	v_add_co_u32 v14, s0, v34, v4
	s_delay_alu instid0(VALU_DEP_1) | instskip(SKIP_2) | instid1(VALU_DEP_2)
	v_add_co_ci_u32_e64 v15, s0, v35, v5, s0
	v_lshlrev_b64 v[4:5], 3, v[7:8]
	v_mad_u64_u32 v[7:8], null, s8, v24, 0
	v_add_co_u32 v16, s0, v34, v4
	s_delay_alu instid0(VALU_DEP_1) | instskip(SKIP_1) | instid1(VALU_DEP_4)
	v_add_co_ci_u32_e64 v17, s0, v35, v5, s0
	v_lshlrev_b64 v[4:5], 3, v[9:10]
	v_mad_u64_u32 v[9:10], null, s9, v23, v[6:7]
	v_mad_u64_u32 v[10:11], null, s8, v22, 0
	s_delay_alu instid0(VALU_DEP_3) | instskip(NEXT) | instid1(VALU_DEP_1)
	v_add_co_u32 v27, s0, v34, v4
	v_add_co_ci_u32_e64 v28, s0, v35, v5, s0
	s_delay_alu instid0(VALU_DEP_3) | instskip(NEXT) | instid1(VALU_DEP_1)
	v_dual_mov_b32 v13, v9 :: v_dual_mov_b32 v4, v11
	v_lshlrev_b64 v[12:13], 3, v[12:13]
	s_delay_alu instid0(VALU_DEP_2)
	v_mad_u64_u32 v[31:32], null, s9, v22, v[4:5]
	v_mov_b32_e32 v6, v8
	s_clause 0x3
	global_load_b64 v[4:5], v[2:3], off
	global_load_b64 v[18:19], v[14:15], off
	;; [unrolled: 1-line block ×4, first 2 shown]
	v_add_co_u32 v12, s0, v34, v12
	s_delay_alu instid0(VALU_DEP_1) | instskip(SKIP_3) | instid1(VALU_DEP_1)
	v_add_co_ci_u32_e64 v13, s0, v35, v13, s0
	v_mov_b32_e32 v11, v31
	v_mad_u64_u32 v[8:9], null, s9, v24, v[6:7]
	v_dual_mov_b32 v6, v30 :: v_dual_add_nc_u32 v9, 0x798, v21
	v_mad_u64_u32 v[32:33], null, s8, v9, 0
	s_delay_alu instid0(VALU_DEP_2) | instskip(NEXT) | instid1(VALU_DEP_4)
	v_mad_u64_u32 v[14:15], null, s9, v36, v[6:7]
	v_lshlrev_b64 v[7:8], 3, v[7:8]
	s_delay_alu instid0(VALU_DEP_3) | instskip(NEXT) | instid1(VALU_DEP_3)
	v_mov_b32_e32 v6, v33
	v_mov_b32_e32 v30, v14
	s_delay_alu instid0(VALU_DEP_2) | instskip(SKIP_2) | instid1(VALU_DEP_1)
	v_mad_u64_u32 v[27:28], null, s9, v9, v[6:7]
	v_lshlrev_b64 v[9:10], 3, v[10:11]
	v_add_co_u32 v6, s0, v34, v7
	v_add_co_ci_u32_e64 v7, s0, v35, v8, s0
	v_lshlrev_b64 v[14:15], 3, v[29:30]
	v_mov_b32_e32 v33, v27
	v_add_co_u32 v8, s0, v34, v9
	s_delay_alu instid0(VALU_DEP_1) | instskip(NEXT) | instid1(VALU_DEP_3)
	v_add_co_ci_u32_e64 v9, s0, v35, v10, s0
	v_lshlrev_b64 v[10:11], 3, v[32:33]
	v_add_co_u32 v27, s0, v34, v14
	s_delay_alu instid0(VALU_DEP_1) | instskip(NEXT) | instid1(VALU_DEP_3)
	v_add_co_ci_u32_e64 v28, s0, v35, v15, s0
	v_add_co_u32 v10, s0, v34, v10
	s_delay_alu instid0(VALU_DEP_1)
	v_add_co_ci_u32_e64 v11, s0, v35, v11, s0
	s_clause 0x4
	global_load_b64 v[14:15], v[12:13], off
	global_load_b64 v[12:13], v[6:7], off
	;; [unrolled: 1-line block ×5, first 2 shown]
	v_dual_mov_b32 v28, v22 :: v_dual_mov_b32 v27, v20
.LBB0_13:
	s_or_b32 exec_lo, exec_lo, s1
	s_waitcnt vmcnt(6)
	v_dual_add_f32 v29, v16, v18 :: v_dual_add_f32 v30, v18, v4
	v_dual_sub_f32 v31, v19, v17 :: v_dual_add_f32 v32, v17, v19
	v_dual_add_f32 v19, v19, v5 :: v_dual_sub_f32 v18, v18, v16
	s_delay_alu instid0(VALU_DEP_2) | instskip(NEXT) | instid1(VALU_DEP_1)
	v_dual_fmac_f32 v4, -0.5, v29 :: v_dual_fmac_f32 v5, -0.5, v32
	v_dual_add_f32 v16, v16, v30 :: v_dual_fmamk_f32 v29, v31, 0x3f5db3d7, v4
	v_fmac_f32_e32 v4, 0xbf5db3d7, v31
	s_delay_alu instid0(VALU_DEP_3) | instskip(SKIP_4) | instid1(VALU_DEP_3)
	v_dual_add_f32 v31, v17, v19 :: v_dual_fmamk_f32 v32, v18, 0xbf5db3d7, v5
	s_waitcnt vmcnt(3)
	v_add_f32_e32 v17, v12, v14
	v_add_f32_e32 v19, v14, v2
	v_dual_fmac_f32 v5, 0x3f5db3d7, v18 :: v_dual_add_f32 v18, v13, v15
	v_fmac_f32_e32 v2, -0.5, v17
	v_sub_f32_e32 v17, v15, v13
	v_add_f32_e32 v15, v15, v3
	v_dual_add_f32 v19, v12, v19 :: v_dual_sub_f32 v12, v14, v12
	s_waitcnt vmcnt(0)
	v_dual_add_f32 v14, v10, v8 :: v_dual_fmac_f32 v3, -0.5, v18
	v_fmamk_f32 v18, v17, 0x3f5db3d7, v2
	v_dual_fmac_f32 v2, 0xbf5db3d7, v17 :: v_dual_add_f32 v33, v13, v15
	v_add_f32_e32 v13, v8, v6
	s_delay_alu instid0(VALU_DEP_4) | instskip(SKIP_2) | instid1(VALU_DEP_4)
	v_dual_fmac_f32 v6, -0.5, v14 :: v_dual_add_f32 v15, v11, v9
	v_sub_f32_e32 v14, v9, v11
	v_add_f32_e32 v9, v9, v7
	v_dual_add_f32 v17, v10, v13 :: v_dual_sub_f32 v8, v8, v10
	v_mad_u32_u24 v10, v21, 12, 0
	v_fmamk_f32 v34, v12, 0xbf5db3d7, v3
	v_dual_fmac_f32 v3, 0x3f5db3d7, v12 :: v_dual_fmamk_f32 v30, v14, 0x3f5db3d7, v6
	v_dual_fmac_f32 v6, 0xbf5db3d7, v14 :: v_dual_add_f32 v9, v11, v9
	v_lshlrev_b32_e32 v11, 3, v21
	v_mad_i32_i24 v12, v27, 12, 0
	ds_store_2addr_b32 v10, v16, v29 offset1:1
	ds_store_b32 v10, v4 offset:8
	ds_store_2addr_b32 v12, v19, v18 offset1:1
	ds_store_b32 v12, v2 offset:8
	v_and_b32_e32 v4, 0xff, v21
	v_sub_nc_u32_e32 v14, v10, v11
	v_fmac_f32_e32 v7, -0.5, v15
	v_mad_i32_i24 v13, v28, 12, 0
	ds_store_2addr_b32 v13, v17, v30 offset1:1
	ds_store_b32 v13, v6 offset:8
	v_add_nc_u32_e32 v16, 0x12e0, v14
	v_mul_lo_u16 v45, v4, 57
	s_waitcnt lgkmcnt(0)
	s_barrier
	buffer_gl0_inv
	ds_load_2addr_b32 v[41:42], v16 offset0:7 offset1:250
	v_lshrrev_b16 v57, 9, v45
	v_lshlrev_b32_e32 v17, 3, v27
	v_lshlrev_b32_e32 v19, 3, v28
	v_add_nc_u32_e32 v15, 0xb40, v14
	v_add_nc_u32_e32 v18, 0x1a80, v14
	v_mul_lo_u16 v63, v57, 9
	v_mul_lo_u16 v2, 0xab, v4
	v_sub_nc_u32_e32 v29, v12, v17
	v_sub_nc_u32_e32 v30, v13, v19
	v_and_b32_e32 v6, 0xffff, v27
	v_sub_nc_u16 v63, v21, v63
	ds_load_2addr_b32 v[39:40], v15 offset0:9 offset1:252
	ds_load_2addr_b32 v[43:44], v18 offset0:5 offset1:248
	ds_load_b32 v11, v14
	ds_load_b32 v51, v29
	;; [unrolled: 1-line block ×3, first 2 shown]
	v_lshrrev_b16 v53, 9, v2
	v_and_b32_e32 v2, 0xffff, v28
	v_fmamk_f32 v35, v8, 0xbf5db3d7, v7
	v_and_b32_e32 v63, 0xff, v63
	v_fmac_f32_e32 v7, 0x3f5db3d7, v8
	v_mul_u32_u24_e32 v8, 0xaaab, v6
	v_mul_lo_u16 v36, v53, 3
	v_mul_u32_u24_e32 v37, 0xaaab, v2
	v_lshlrev_b32_e32 v66, 4, v63
	s_waitcnt lgkmcnt(0)
	v_lshrrev_b32_e32 v54, 17, v8
	s_barrier
	buffer_gl0_inv
	ds_store_2addr_b32 v10, v31, v32 offset1:1
	ds_store_b32 v10, v5 offset:8
	v_sub_nc_u16 v5, v21, v36
	v_lshrrev_b32_e32 v55, 17, v37
	v_mul_lo_u16 v8, v54, 3
	ds_store_2addr_b32 v12, v33, v34 offset1:1
	ds_store_b32 v12, v3 offset:8
	v_mul_u32_u24_e32 v46, 0xe38f, v6
	v_and_b32_e32 v3, 0xff, v5
	v_mul_lo_u16 v5, v55, 3
	v_sub_nc_u16 v8, v27, v8
	v_mul_u32_u24_e32 v47, 0xe38f, v2
	v_lshrrev_b32_e32 v58, 19, v46
	v_mul_u32_u24_e32 v54, 36, v54
	v_sub_nc_u16 v5, v28, v5
	v_and_b32_e32 v56, 0xffff, v8
	v_lshrrev_b32_e32 v59, 19, v47
	v_mul_u32_u24_e32 v55, 36, v55
	v_mul_lo_u16 v64, v58, 9
	v_and_b32_e32 v5, 0xffff, v5
	v_lshlrev_b32_e32 v31, 4, v56
	v_lshlrev_b32_e32 v56, 2, v56
	ds_store_2addr_b32 v13, v9, v35 offset1:1
	ds_store_b32 v13, v7 offset:8
	v_lshlrev_b32_e32 v7, 4, v3
	v_lshlrev_b32_e32 v35, 4, v5
	s_waitcnt lgkmcnt(0)
	s_barrier
	buffer_gl0_inv
	s_clause 0x2
	global_load_b128 v[7:10], v7, s[4:5]
	global_load_b128 v[31:34], v31, s[4:5]
	;; [unrolled: 1-line block ×3, first 2 shown]
	ds_load_2addr_b32 v[45:46], v15 offset0:9 offset1:252
	ds_load_2addr_b32 v[47:48], v16 offset0:7 offset1:250
	ds_load_2addr_b32 v[49:50], v18 offset0:5 offset1:248
	ds_load_b32 v60, v14
	ds_load_b32 v61, v29
	;; [unrolled: 1-line block ×3, first 2 shown]
	v_and_b32_e32 v53, 0xffff, v53
	v_mul_lo_u16 v65, v59, 9
	v_sub_nc_u16 v64, v27, v64
	s_waitcnt vmcnt(0) lgkmcnt(0)
	s_barrier
	buffer_gl0_inv
	v_sub_nc_u16 v65, v28, v65
	v_mul_f32_e32 v68, v49, v34
	v_dual_mul_f32 v34, v43, v34 :: v_dual_lshlrev_b32 v3, 2, v3
	v_mul_f32_e32 v70, v50, v38
	v_mul_f32_e32 v38, v44, v38
	v_mul_u32_u24_e32 v53, 36, v53
	s_delay_alu instid0(VALU_DEP_4) | instskip(SKIP_1) | instid1(VALU_DEP_3)
	v_dual_fmac_f32 v34, v49, v33 :: v_dual_mul_f32 v69, v47, v36
	v_mul_f32_e32 v36, v41, v36
	v_add3_u32 v3, 0, v53, v3
	v_add3_u32 v53, 0, v54, v56
	v_mul_f32_e32 v56, v46, v32
	v_dual_mul_f32 v32, v40, v32 :: v_dual_lshlrev_b32 v5, 2, v5
	v_mul_f32_e32 v54, v45, v8
	v_dual_mul_f32 v8, v39, v8 :: v_dual_and_b32 v65, 0xffff, v65
	s_delay_alu instid0(VALU_DEP_3) | instskip(NEXT) | instid1(VALU_DEP_4)
	v_fmac_f32_e32 v32, v46, v31
	v_add3_u32 v5, 0, v55, v5
	s_delay_alu instid0(VALU_DEP_3) | instskip(SKIP_3) | instid1(VALU_DEP_4)
	v_dual_mul_f32 v55, v48, v10 :: v_dual_fmac_f32 v8, v45, v7
	v_mul_f32_e32 v10, v42, v10
	v_fma_f32 v39, v39, v7, -v54
	v_dual_fmac_f32 v36, v47, v35 :: v_dual_sub_f32 v45, v32, v34
	v_fma_f32 v7, v42, v9, -v55
	v_and_b32_e32 v64, 0xffff, v64
	v_fmac_f32_e32 v10, v48, v9
	v_fma_f32 v9, v40, v31, -v56
	v_fma_f32 v31, v43, v33, -v68
	;; [unrolled: 1-line block ×4, first 2 shown]
	v_add_f32_e32 v40, v39, v7
	v_dual_fmac_f32 v38, v50, v37 :: v_dual_add_f32 v37, v11, v39
	v_sub_f32_e32 v41, v8, v10
	v_dual_add_f32 v42, v60, v8 :: v_dual_add_f32 v43, v51, v9
	v_dual_add_f32 v8, v8, v10 :: v_dual_sub_f32 v39, v39, v7
	v_lshlrev_b32_e32 v67, 4, v64
	v_dual_add_f32 v47, v52, v33 :: v_dual_add_f32 v48, v33, v35
	v_fmac_f32_e32 v11, -0.5, v40
	v_add_f32_e32 v46, v61, v32
	v_dual_add_f32 v32, v32, v34 :: v_dual_sub_f32 v33, v33, v35
	v_add_f32_e32 v44, v9, v31
	v_sub_f32_e32 v9, v9, v31
	v_dual_sub_f32 v49, v36, v38 :: v_dual_add_f32 v50, v62, v36
	v_dual_add_f32 v7, v37, v7 :: v_dual_add_f32 v36, v36, v38
	s_delay_alu instid0(VALU_DEP_4)
	v_dual_fmac_f32 v51, -0.5, v44 :: v_dual_add_f32 v10, v42, v10
	v_dual_fmac_f32 v61, -0.5, v32 :: v_dual_add_f32 v32, v47, v35
	v_fmamk_f32 v35, v41, 0x3f5db3d7, v11
	v_dual_fmac_f32 v11, 0xbf5db3d7, v41 :: v_dual_fmac_f32 v60, -0.5, v8
	v_fmac_f32_e32 v52, -0.5, v48
	v_fmac_f32_e32 v62, -0.5, v36
	v_dual_add_f32 v8, v43, v31 :: v_dual_fmamk_f32 v37, v45, 0x3f5db3d7, v51
	s_delay_alu instid0(VALU_DEP_4)
	v_dual_add_f32 v31, v46, v34 :: v_dual_fmamk_f32 v36, v39, 0xbf5db3d7, v60
	v_fmac_f32_e32 v60, 0x3f5db3d7, v39
	v_add_f32_e32 v34, v50, v38
	v_fmamk_f32 v38, v9, 0xbf5db3d7, v61
	v_fmac_f32_e32 v51, 0xbf5db3d7, v45
	v_fmac_f32_e32 v61, 0x3f5db3d7, v9
	v_fmamk_f32 v9, v49, 0x3f5db3d7, v52
	v_fmac_f32_e32 v52, 0xbf5db3d7, v49
	v_fmamk_f32 v45, v33, 0xbf5db3d7, v62
	v_fmac_f32_e32 v62, 0x3f5db3d7, v33
	v_mul_u32_u24_e32 v54, 0x6c, v58
	v_mul_u32_u24_e32 v55, 0x6c, v59
	v_lshlrev_b32_e32 v58, 2, v63
	ds_store_2addr_b32 v3, v7, v35 offset1:3
	ds_store_b32 v3, v11 offset:24
	ds_store_2addr_b32 v53, v8, v37 offset1:3
	ds_store_b32 v53, v51 offset:24
	;; [unrolled: 2-line block ×3, first 2 shown]
	s_waitcnt lgkmcnt(0)
	s_barrier
	buffer_gl0_inv
	ds_load_2addr_b32 v[39:40], v15 offset0:9 offset1:252
	ds_load_2addr_b32 v[41:42], v16 offset0:7 offset1:250
	;; [unrolled: 1-line block ×3, first 2 shown]
	ds_load_b32 v11, v14
	ds_load_b32 v51, v29
	;; [unrolled: 1-line block ×3, first 2 shown]
	s_waitcnt lgkmcnt(0)
	s_barrier
	buffer_gl0_inv
	v_lshlrev_b32_e32 v59, 2, v64
	ds_store_2addr_b32 v3, v10, v36 offset1:3
	ds_store_b32 v3, v60 offset:24
	ds_store_2addr_b32 v53, v31, v38 offset1:3
	ds_store_b32 v53, v61 offset:24
	;; [unrolled: 2-line block ×3, first 2 shown]
	s_waitcnt lgkmcnt(0)
	s_barrier
	buffer_gl0_inv
	global_load_b128 v[7:10], v66, s[4:5] offset:48
	v_lshlrev_b32_e32 v3, 4, v65
	s_clause 0x1
	global_load_b128 v[31:34], v67, s[4:5] offset:48
	global_load_b128 v[35:38], v3, s[4:5] offset:48
	v_mul_u32_u24_e32 v3, 0x2f69, v6
	v_mul_u32_u24_e32 v5, 0x2f69, v2
	v_mul_lo_u16 v45, v4, 19
	v_and_b32_e32 v48, 0xffff, v57
	v_lshlrev_b32_e32 v62, 2, v65
	v_lshrrev_b32_e32 v3, 16, v3
	v_lshrrev_b32_e32 v5, 16, v5
	v_lshrrev_b16 v53, 9, v45
	v_mul_u32_u24_e32 v56, 0x6c, v48
	v_add3_u32 v55, 0, v55, v62
	v_sub_nc_u16 v46, v27, v3
	v_sub_nc_u16 v45, v28, v5
	v_mul_lo_u16 v47, v53, 27
	v_add3_u32 v56, 0, v56, v58
	v_add3_u32 v54, 0, v54, v59
	v_lshrrev_b16 v46, 1, v46
	v_lshrrev_b16 v45, 1, v45
	v_mul_u32_u24_e32 v6, 0x6523, v6
	v_mul_lo_u16 v4, 0xcb, v4
	s_delay_alu instid0(VALU_DEP_4)
	v_add_nc_u16 v3, v46, v3
	v_sub_nc_u16 v46, v21, v47
	v_add_nc_u16 v5, v45, v5
	ds_load_2addr_b32 v[47:48], v16 offset0:7 offset1:250
	v_lshrrev_b16 v3, 4, v3
	v_and_b32_e32 v57, 0xff, v46
	ds_load_2addr_b32 v[45:46], v15 offset0:9 offset1:252
	v_lshrrev_b16 v5, 4, v5
	v_mul_lo_u16 v49, v3, 27
	s_delay_alu instid0(VALU_DEP_2) | instskip(NEXT) | instid1(VALU_DEP_2)
	v_mul_lo_u16 v60, v5, 27
	v_sub_nc_u16 v61, v27, v49
	ds_load_2addr_b32 v[49:50], v18 offset0:5 offset1:248
	v_sub_nc_u16 v60, v28, v60
	s_waitcnt vmcnt(2) lgkmcnt(2)
	v_dual_mul_f32 v66, v48, v10 :: v_dual_and_b32 v61, 0xffff, v61
	s_waitcnt lgkmcnt(1)
	v_mul_f32_e32 v65, v45, v8
	v_dual_mul_f32 v8, v39, v8 :: v_dual_lshlrev_b32 v63, 4, v57
	s_waitcnt vmcnt(1) lgkmcnt(0)
	v_dual_mul_f32 v67, v46, v32 :: v_dual_mul_f32 v68, v49, v34
	s_delay_alu instid0(VALU_DEP_3) | instskip(NEXT) | instid1(VALU_DEP_3)
	v_fma_f32 v39, v39, v7, -v65
	v_fmac_f32_e32 v8, v45, v7
	v_fma_f32 v7, v42, v9, -v66
	s_waitcnt vmcnt(0)
	v_dual_mul_f32 v10, v42, v10 :: v_dual_mul_f32 v69, v47, v36
	v_and_b32_e32 v58, 0xffff, v60
	ds_load_b32 v60, v14
	ds_load_b32 v62, v29
	;; [unrolled: 1-line block ×3, first 2 shown]
	s_waitcnt lgkmcnt(0)
	v_fmac_f32_e32 v10, v48, v9
	v_fma_f32 v9, v40, v31, -v67
	v_mul_f32_e32 v32, v40, v32
	s_barrier
	buffer_gl0_inv
	v_lshlrev_b32_e32 v57, 2, v57
	v_dual_fmac_f32 v32, v46, v31 :: v_dual_lshlrev_b32 v59, 4, v61
	v_fma_f32 v31, v43, v33, -v68
	v_mul_f32_e32 v34, v43, v34
	v_add_f32_e32 v43, v51, v9
	s_delay_alu instid0(VALU_DEP_2) | instskip(SKIP_3) | instid1(VALU_DEP_4)
	v_fmac_f32_e32 v34, v49, v33
	v_fma_f32 v33, v41, v35, -v69
	v_mul_f32_e32 v70, v50, v38
	v_mul_f32_e32 v38, v44, v38
	v_dual_sub_f32 v45, v32, v34 :: v_dual_mul_f32 v36, v41, v36
	s_delay_alu instid0(VALU_DEP_2) | instskip(SKIP_1) | instid1(VALU_DEP_3)
	v_dual_sub_f32 v41, v8, v10 :: v_dual_fmac_f32 v38, v50, v37
	v_add_f32_e32 v40, v39, v7
	v_fmac_f32_e32 v36, v47, v35
	v_fma_f32 v35, v44, v37, -v70
	v_add_f32_e32 v37, v11, v39
	v_dual_add_f32 v44, v9, v31 :: v_dual_add_f32 v47, v52, v33
	s_delay_alu instid0(VALU_DEP_3) | instskip(SKIP_2) | instid1(VALU_DEP_4)
	v_dual_sub_f32 v49, v36, v38 :: v_dual_add_f32 v48, v33, v35
	v_sub_f32_e32 v33, v33, v35
	v_fmac_f32_e32 v11, -0.5, v40
	v_fmac_f32_e32 v51, -0.5, v44
	v_add_f32_e32 v42, v60, v8
	v_add_f32_e32 v8, v8, v10
	v_fmac_f32_e32 v52, -0.5, v48
	v_add_f32_e32 v46, v62, v32
	v_dual_add_f32 v32, v32, v34 :: v_dual_sub_f32 v39, v39, v7
	v_sub_f32_e32 v9, v9, v31
	v_add_f32_e32 v7, v37, v7
	s_delay_alu instid0(VALU_DEP_3)
	v_dual_fmamk_f32 v37, v45, 0x3f5db3d7, v51 :: v_dual_fmac_f32 v62, -0.5, v32
	v_dual_add_f32 v32, v47, v35 :: v_dual_fmamk_f32 v35, v41, 0x3f5db3d7, v11
	v_dual_fmac_f32 v51, 0xbf5db3d7, v45 :: v_dual_fmac_f32 v60, -0.5, v8
	v_dual_add_f32 v8, v43, v31 :: v_dual_add_f32 v31, v46, v34
	v_add_f32_e32 v50, v64, v36
	v_add_f32_e32 v36, v36, v38
	v_dual_add_f32 v10, v42, v10 :: v_dual_fmac_f32 v11, 0xbf5db3d7, v41
	s_delay_alu instid0(VALU_DEP_3) | instskip(NEXT) | instid1(VALU_DEP_3)
	v_add_f32_e32 v34, v50, v38
	v_fmac_f32_e32 v64, -0.5, v36
	v_fmamk_f32 v36, v39, 0xbf5db3d7, v60
	v_fmac_f32_e32 v60, 0x3f5db3d7, v39
	v_fmamk_f32 v38, v9, 0xbf5db3d7, v62
	v_fmac_f32_e32 v62, 0x3f5db3d7, v9
	v_fmamk_f32 v9, v49, 0x3f5db3d7, v52
	v_fmamk_f32 v45, v33, 0xbf5db3d7, v64
	v_fmac_f32_e32 v52, 0xbf5db3d7, v49
	v_fmac_f32_e32 v64, 0x3f5db3d7, v33
	ds_store_2addr_b32 v56, v7, v35 offset1:9
	ds_store_b32 v56, v11 offset:72
	ds_store_2addr_b32 v54, v8, v37 offset1:9
	ds_store_b32 v54, v51 offset:72
	;; [unrolled: 2-line block ×3, first 2 shown]
	s_waitcnt lgkmcnt(0)
	s_barrier
	buffer_gl0_inv
	ds_load_2addr_b32 v[39:40], v15 offset0:9 offset1:252
	ds_load_2addr_b32 v[41:42], v16 offset0:7 offset1:250
	;; [unrolled: 1-line block ×3, first 2 shown]
	ds_load_b32 v11, v14
	ds_load_b32 v47, v29
	;; [unrolled: 1-line block ×3, first 2 shown]
	s_waitcnt lgkmcnt(0)
	s_barrier
	buffer_gl0_inv
	ds_store_2addr_b32 v56, v10, v36 offset1:9
	ds_store_b32 v56, v60 offset:72
	ds_store_2addr_b32 v54, v31, v38 offset1:9
	ds_store_b32 v54, v62 offset:72
	;; [unrolled: 2-line block ×3, first 2 shown]
	s_waitcnt lgkmcnt(0)
	s_barrier
	buffer_gl0_inv
	global_load_b128 v[7:10], v63, s[4:5] offset:192
	v_lshlrev_b32_e32 v35, 4, v58
	s_clause 0x1
	global_load_b128 v[31:34], v59, s[4:5] offset:192
	global_load_b128 v[35:38], v35, s[4:5] offset:192
	v_lshrrev_b32_e32 v50, 21, v6
	v_and_b32_e32 v55, 0xffff, v5
	v_mul_u32_u24_e32 v45, 0x6523, v2
	v_lshrrev_b16 v49, 14, v4
	v_mul_u32_u24_e32 v2, 0xdb3, v2
	v_mul_lo_u16 v6, 0x51, v50
	v_mul_u32_u24_e32 v55, 0x144, v55
	v_lshrrev_b32_e32 v51, 21, v45
	v_mul_lo_u16 v4, 0x51, v49
	v_and_b32_e32 v45, 0xffff, v53
	v_sub_nc_u16 v6, v27, v6
	s_delay_alu instid0(VALU_DEP_4) | instskip(NEXT) | instid1(VALU_DEP_4)
	v_mul_lo_u16 v46, 0x51, v51
	v_sub_nc_u16 v4, v21, v4
	s_delay_alu instid0(VALU_DEP_4) | instskip(NEXT) | instid1(VALU_DEP_4)
	v_mul_u32_u24_e32 v52, 0x144, v45
	v_and_b32_e32 v54, 0xffff, v6
	ds_load_2addr_b32 v[5:6], v16 offset0:7 offset1:250
	v_sub_nc_u16 v45, v28, v46
	v_and_b32_e32 v53, 0xff, v4
	v_add3_u32 v52, 0, v52, v57
	s_waitcnt vmcnt(2) lgkmcnt(0)
	v_mul_f32_e32 v64, v6, v10
	s_waitcnt vmcnt(0)
	v_dual_mul_f32 v10, v42, v10 :: v_dual_mul_f32 v67, v5, v36
	s_delay_alu instid0(VALU_DEP_1)
	v_fmac_f32_e32 v10, v6, v9
	v_and_b32_e32 v46, 0xffff, v3
	ds_load_2addr_b32 v[3:4], v15 offset0:9 offset1:252
	v_mul_f32_e32 v36, v41, v36
	v_mul_u32_u24_e32 v59, 0x144, v46
	s_waitcnt lgkmcnt(0)
	s_delay_alu instid0(VALU_DEP_2) | instskip(SKIP_3) | instid1(VALU_DEP_4)
	v_dual_fmac_f32 v36, v5, v35 :: v_dual_mul_f32 v63, v3, v8
	v_mul_f32_e32 v8, v39, v8
	v_mul_f32_e32 v65, v4, v32
	;; [unrolled: 1-line block ×3, first 2 shown]
	v_fma_f32 v39, v39, v7, -v63
	s_delay_alu instid0(VALU_DEP_4)
	v_fmac_f32_e32 v8, v3, v7
	v_fma_f32 v3, v42, v9, -v64
	v_fma_f32 v6, v40, v31, -v65
	v_fmac_f32_e32 v32, v4, v31
	v_dual_add_f32 v9, v11, v39 :: v_dual_and_b32 v56, 0xffff, v45
	ds_load_2addr_b32 v[45:46], v18 offset0:5 offset1:248
	v_dual_add_f32 v31, v39, v3 :: v_dual_lshlrev_b32 v60, 2, v61
	v_fma_f32 v7, v41, v35, -v67
	v_lshlrev_b32_e32 v61, 4, v53
	s_delay_alu instid0(VALU_DEP_3) | instskip(NEXT) | instid1(VALU_DEP_4)
	v_fmac_f32_e32 v11, -0.5, v31
	v_add3_u32 v57, 0, v59, v60
	s_waitcnt lgkmcnt(0)
	v_mul_f32_e32 v66, v45, v34
	v_mul_f32_e32 v68, v46, v38
	;; [unrolled: 1-line block ×4, first 2 shown]
	s_delay_alu instid0(VALU_DEP_4) | instskip(NEXT) | instid1(VALU_DEP_4)
	v_fma_f32 v4, v43, v33, -v66
	v_fma_f32 v5, v44, v37, -v68
	s_delay_alu instid0(VALU_DEP_4) | instskip(NEXT) | instid1(VALU_DEP_3)
	v_dual_fmac_f32 v38, v46, v37 :: v_dual_sub_f32 v37, v39, v3
	v_dual_add_f32 v39, v47, v6 :: v_dual_add_f32 v40, v6, v4
	v_lshlrev_b32_e32 v58, 2, v58
	v_fmac_f32_e32 v34, v45, v33
	v_dual_add_f32 v44, v7, v5 :: v_dual_sub_f32 v33, v8, v10
	s_delay_alu instid0(VALU_DEP_4) | instskip(NEXT) | instid1(VALU_DEP_4)
	v_fmac_f32_e32 v47, -0.5, v40
	v_add3_u32 v55, 0, v55, v58
	ds_load_b32 v58, v14
	ds_load_b32 v59, v29
	ds_load_b32 v60, v30
	v_dual_sub_f32 v41, v32, v34 :: v_dual_sub_f32 v6, v6, v4
	v_add_f32_e32 v43, v48, v7
	v_sub_f32_e32 v45, v36, v38
	v_dual_sub_f32 v7, v7, v5 :: v_dual_fmac_f32 v48, -0.5, v44
	v_dual_add_f32 v3, v9, v3 :: v_dual_add_f32 v4, v39, v4
	s_delay_alu instid0(VALU_DEP_4)
	v_add_f32_e32 v5, v43, v5
	s_waitcnt lgkmcnt(0)
	s_barrier
	buffer_gl0_inv
	v_and_b32_e32 v44, 0xffff, v49
	v_mul_u32_u24_e32 v49, 0x3cc, v50
	v_mul_u32_u24_e32 v50, 0x3cc, v51
	v_add_f32_e32 v35, v58, v8
	v_add_f32_e32 v42, v59, v32
	;; [unrolled: 1-line block ×3, first 2 shown]
	v_lshlrev_b32_e32 v62, 4, v54
	v_add_f32_e32 v8, v8, v10
	v_dual_add_f32 v9, v35, v10 :: v_dual_fmamk_f32 v10, v33, 0x3f5db3d7, v11
	s_delay_alu instid0(VALU_DEP_4)
	v_fmac_f32_e32 v59, -0.5, v32
	v_fmac_f32_e32 v11, 0xbf5db3d7, v33
	v_fmamk_f32 v33, v41, 0x3f5db3d7, v47
	v_dual_fmac_f32 v47, 0xbf5db3d7, v41 :: v_dual_fmac_f32 v58, -0.5, v8
	v_add_f32_e32 v8, v42, v34
	v_fmamk_f32 v34, v6, 0xbf5db3d7, v59
	v_dual_fmac_f32 v59, 0x3f5db3d7, v6 :: v_dual_fmamk_f32 v6, v45, 0x3f5db3d7, v48
	v_fmac_f32_e32 v48, 0xbf5db3d7, v45
	ds_store_2addr_b32 v52, v3, v10 offset1:27
	ds_store_b32 v52, v11 offset:216
	ds_store_2addr_b32 v57, v4, v33 offset1:27
	ds_store_b32 v57, v47 offset:216
	;; [unrolled: 2-line block ×3, first 2 shown]
	s_waitcnt lgkmcnt(0)
	s_barrier
	buffer_gl0_inv
	ds_load_2addr_b32 v[10:11], v15 offset0:9 offset1:252
	ds_load_2addr_b32 v[39:40], v16 offset0:7 offset1:250
	;; [unrolled: 1-line block ×3, first 2 shown]
	ds_load_b32 v63, v14
	ds_load_b32 v64, v29
	;; [unrolled: 1-line block ×3, first 2 shown]
	v_add_f32_e32 v46, v60, v36
	v_add_f32_e32 v36, v36, v38
	v_fmamk_f32 v32, v37, 0xbf5db3d7, v58
	v_dual_fmac_f32 v58, 0x3f5db3d7, v37 :: v_dual_lshlrev_b32 v3, 4, v56
	s_delay_alu instid0(VALU_DEP_3)
	v_dual_add_f32 v31, v46, v38 :: v_dual_fmac_f32 v60, -0.5, v36
	s_waitcnt lgkmcnt(0)
	s_barrier
	buffer_gl0_inv
	v_mul_u32_u24_e32 v51, 0x3cc, v44
	v_fmamk_f32 v35, v7, 0xbf5db3d7, v60
	v_fmac_f32_e32 v60, 0x3f5db3d7, v7
	ds_store_2addr_b32 v52, v9, v32 offset1:27
	ds_store_b32 v52, v58 offset:216
	ds_store_2addr_b32 v57, v8, v34 offset1:27
	ds_store_b32 v57, v59 offset:216
	ds_store_2addr_b32 v55, v31, v35 offset1:27
	ds_store_b32 v55, v60 offset:216
	s_waitcnt lgkmcnt(0)
	s_barrier
	buffer_gl0_inv
	s_clause 0x2
	global_load_b128 v[4:7], v61, s[4:5] offset:624
	global_load_b128 v[31:34], v62, s[4:5] offset:624
	;; [unrolled: 1-line block ×3, first 2 shown]
	ds_load_2addr_b32 v[45:46], v16 offset0:7 offset1:250
	ds_load_2addr_b32 v[47:48], v18 offset0:5 offset1:248
	v_lshrrev_b32_e32 v8, 16, v2
	v_dual_mov_b32 v3, 0 :: v_dual_lshlrev_b32 v52, 2, v53
	v_lshlrev_b32_e32 v53, 2, v54
	s_delay_alu instid0(VALU_DEP_3) | instskip(NEXT) | instid1(VALU_DEP_3)
	v_sub_nc_u16 v2, v28, v8
	v_add3_u32 v51, 0, v51, v52
	s_delay_alu instid0(VALU_DEP_3) | instskip(NEXT) | instid1(VALU_DEP_3)
	v_add3_u32 v49, 0, v49, v53
	v_lshrrev_b16 v9, 1, v2
	v_lshlrev_b32_e32 v2, 1, v21
	s_delay_alu instid0(VALU_DEP_2) | instskip(NEXT) | instid1(VALU_DEP_2)
	v_add_nc_u16 v43, v9, v8
	v_lshlrev_b64 v[8:9], 3, v[2:3]
	s_delay_alu instid0(VALU_DEP_2) | instskip(SKIP_2) | instid1(VALU_DEP_1)
	v_lshrrev_b16 v2, 7, v43
	ds_load_2addr_b32 v[43:44], v15 offset0:9 offset1:252
	v_add_co_u32 v8, s0, s4, v8
	v_add_co_ci_u32_e64 v9, s0, s5, v9, s0
	v_mul_lo_u16 v2, 0xf3, v2
	s_delay_alu instid0(VALU_DEP_1)
	v_sub_nc_u16 v2, v28, v2
	s_waitcnt vmcnt(0) lgkmcnt(1)
	v_dual_mul_f32 v58, v47, v34 :: v_dual_mul_f32 v59, v45, v36
	v_mul_f32_e32 v36, v39, v36
	v_mul_f32_e32 v60, v48, v38
	;; [unrolled: 1-line block ×3, first 2 shown]
	s_waitcnt lgkmcnt(0)
	v_dual_mul_f32 v34, v41, v34 :: v_dual_mul_f32 v55, v43, v5
	v_dual_fmac_f32 v36, v45, v35 :: v_dual_mul_f32 v5, v10, v5
	s_delay_alu instid0(VALU_DEP_3) | instskip(NEXT) | instid1(VALU_DEP_3)
	v_fmac_f32_e32 v38, v48, v37
	v_dual_fmac_f32 v34, v47, v33 :: v_dual_mul_f32 v57, v44, v32
	v_mul_f32_e32 v32, v11, v32
	v_fma_f32 v10, v10, v4, -v55
	s_delay_alu instid0(VALU_DEP_4) | instskip(NEXT) | instid1(VALU_DEP_3)
	v_dual_sub_f32 v47, v36, v38 :: v_dual_lshlrev_b32 v54, 2, v56
	v_dual_fmac_f32 v5, v43, v4 :: v_dual_fmac_f32 v32, v44, v31
	s_delay_alu instid0(VALU_DEP_2)
	v_add3_u32 v50, 0, v50, v54
	ds_load_b32 v52, v14
	ds_load_b32 v53, v29
	;; [unrolled: 1-line block ×3, first 2 shown]
	v_sub_f32_e32 v43, v32, v34
	s_waitcnt lgkmcnt(0)
	s_barrier
	buffer_gl0_inv
	v_add_f32_e32 v44, v53, v32
	v_add_f32_e32 v48, v54, v36
	;; [unrolled: 1-line block ×4, first 2 shown]
	s_delay_alu instid0(VALU_DEP_4) | instskip(NEXT) | instid1(VALU_DEP_3)
	v_add_f32_e32 v34, v44, v34
	v_fmac_f32_e32 v54, -0.5, v36
	v_mul_f32_e32 v56, v46, v7
	v_mul_f32_e32 v7, v40, v7
	v_dual_fmac_f32 v53, -0.5, v32 :: v_dual_add_f32 v32, v48, v38
	v_add_nc_u32_e32 v48, 0x780, v14
	s_delay_alu instid0(VALU_DEP_4) | instskip(NEXT) | instid1(VALU_DEP_4)
	v_fma_f32 v4, v40, v6, -v56
	v_fmac_f32_e32 v7, v46, v6
	v_fma_f32 v6, v11, v31, -v57
	v_fma_f32 v11, v41, v33, -v58
	;; [unrolled: 1-line block ×4, first 2 shown]
	v_add_f32_e32 v37, v10, v4
	v_dual_sub_f32 v39, v5, v7 :: v_dual_add_f32 v40, v52, v5
	v_add_f32_e32 v5, v5, v7
	v_add_f32_e32 v42, v6, v11
	;; [unrolled: 1-line block ×3, first 2 shown]
	v_dual_add_f32 v35, v63, v10 :: v_dual_sub_f32 v10, v10, v4
	v_add_f32_e32 v41, v64, v6
	v_add_f32_e32 v45, v65, v31
	v_fmac_f32_e32 v63, -0.5, v37
	v_fmac_f32_e32 v52, -0.5, v5
	v_sub_f32_e32 v6, v6, v11
	v_dual_fmac_f32 v64, -0.5, v42 :: v_dual_sub_f32 v31, v31, v33
	v_dual_fmac_f32 v65, -0.5, v46 :: v_dual_add_f32 v4, v35, v4
	v_add_f32_e32 v7, v40, v7
	v_add_f32_e32 v5, v41, v11
	;; [unrolled: 1-line block ×3, first 2 shown]
	v_fmamk_f32 v33, v39, 0x3f5db3d7, v63
	v_fmac_f32_e32 v63, 0xbf5db3d7, v39
	v_fmamk_f32 v39, v10, 0xbf5db3d7, v52
	v_fmac_f32_e32 v52, 0x3f5db3d7, v10
	v_fmamk_f32 v10, v43, 0x3f5db3d7, v64
	v_fmamk_f32 v40, v6, 0xbf5db3d7, v53
	v_fmac_f32_e32 v64, 0xbf5db3d7, v43
	v_fmac_f32_e32 v53, 0x3f5db3d7, v6
	v_fmamk_f32 v6, v47, 0x3f5db3d7, v65
	v_fmamk_f32 v41, v31, 0xbf5db3d7, v54
	v_fmac_f32_e32 v65, 0xbf5db3d7, v47
	v_fmac_f32_e32 v54, 0x3f5db3d7, v31
	ds_store_2addr_b32 v51, v4, v33 offset1:81
	ds_store_b32 v51, v63 offset:648
	ds_store_2addr_b32 v49, v5, v10 offset1:81
	ds_store_b32 v49, v64 offset:648
	;; [unrolled: 2-line block ×3, first 2 shown]
	s_waitcnt lgkmcnt(0)
	s_barrier
	buffer_gl0_inv
	ds_load_2addr_b32 v[10:11], v15 offset0:9 offset1:252
	ds_load_2addr_b32 v[35:36], v16 offset0:7 offset1:250
	;; [unrolled: 1-line block ×3, first 2 shown]
	ds_load_b32 v45, v14
	ds_load_b32 v46, v29
	;; [unrolled: 1-line block ×3, first 2 shown]
	s_waitcnt lgkmcnt(0)
	s_barrier
	buffer_gl0_inv
	ds_store_2addr_b32 v51, v7, v39 offset1:81
	ds_store_b32 v51, v52 offset:648
	ds_store_2addr_b32 v49, v34, v40 offset1:81
	ds_store_b32 v49, v53 offset:648
	;; [unrolled: 2-line block ×3, first 2 shown]
	s_waitcnt lgkmcnt(0)
	s_barrier
	buffer_gl0_inv
	global_load_b128 v[4:7], v[8:9], off offset:1920
	v_and_b32_e32 v2, 0xffff, v2
	v_add_nc_u32_e32 v49, 0xf00, v14
	s_delay_alu instid0(VALU_DEP_2)
	v_lshlrev_b32_e32 v31, 4, v2
	global_load_b128 v[31:34], v31, s[4:5] offset:1920
	ds_load_2addr_b32 v[39:40], v15 offset0:9 offset1:252
	ds_load_2addr_b32 v[41:42], v16 offset0:7 offset1:250
	;; [unrolled: 1-line block ×3, first 2 shown]
	ds_load_b32 v51, v14
	ds_load_b32 v52, v29
	;; [unrolled: 1-line block ×3, first 2 shown]
	s_waitcnt vmcnt(0) lgkmcnt(0)
	s_barrier
	buffer_gl0_inv
	v_mul_f32_e32 v55, v10, v5
	v_mul_f32_e32 v54, v39, v5
	;; [unrolled: 1-line block ×8, first 2 shown]
	v_fma_f32 v10, v10, v4, -v54
	v_fma_f32 v36, v36, v6, -v56
	v_fmac_f32_e32 v55, v39, v4
	v_mul_f32_e32 v7, v41, v32
	v_mul_f32_e32 v61, v44, v34
	v_fmac_f32_e32 v57, v42, v6
	v_fma_f32 v11, v11, v4, -v58
	v_fmac_f32_e32 v5, v40, v4
	v_fma_f32 v4, v37, v6, -v59
	v_mul_f32_e32 v32, v35, v32
	v_mul_f32_e32 v34, v38, v34
	v_fma_f32 v35, v35, v31, -v7
	v_fma_f32 v37, v38, v33, -v61
	v_dual_add_f32 v7, v10, v36 :: v_dual_fmac_f32 v60, v43, v6
	v_add_f32_e32 v38, v55, v57
	v_add_f32_e32 v40, v11, v4
	v_fmac_f32_e32 v32, v41, v31
	v_fmac_f32_e32 v34, v44, v33
	v_add_f32_e32 v44, v35, v37
	v_dual_add_f32 v6, v45, v10 :: v_dual_sub_f32 v31, v55, v57
	v_fmac_f32_e32 v45, -0.5, v7
	v_add_f32_e32 v39, v46, v11
	v_dual_add_f32 v33, v51, v55 :: v_dual_sub_f32 v10, v10, v36
	v_sub_f32_e32 v41, v5, v60
	v_dual_fmac_f32 v51, -0.5, v38 :: v_dual_fmac_f32 v46, -0.5, v40
	v_lshl_add_u32 v2, v2, 2, 0
	v_dual_add_f32 v42, v52, v5 :: v_dual_add_f32 v5, v5, v60
	v_sub_f32_e32 v43, v11, v4
	v_dual_add_f32 v11, v47, v35 :: v_dual_sub_f32 v54, v32, v34
	v_fmac_f32_e32 v47, -0.5, v44
	v_dual_add_f32 v6, v6, v36 :: v_dual_fmamk_f32 v7, v31, 0x3f5db3d7, v45
	v_dual_add_f32 v4, v39, v4 :: v_dual_fmac_f32 v45, 0xbf5db3d7, v31
	v_fmamk_f32 v36, v10, 0xbf5db3d7, v51
	v_dual_fmac_f32 v51, 0x3f5db3d7, v10 :: v_dual_fmamk_f32 v10, v41, 0x3f5db3d7, v46
	v_fmac_f32_e32 v46, 0xbf5db3d7, v41
	v_add_nc_u32_e32 v50, 0x16c0, v2
	v_fmac_f32_e32 v52, -0.5, v5
	v_add_f32_e32 v5, v11, v37
	v_fmamk_f32 v11, v54, 0x3f5db3d7, v47
	v_fmac_f32_e32 v47, 0xbf5db3d7, v54
	ds_store_2addr_b32 v14, v6, v7 offset1:243
	ds_store_2addr_b32 v48, v45, v4 offset0:6 offset1:249
	ds_store_2addr_b32 v49, v10, v46 offset0:12 offset1:255
	;; [unrolled: 1-line block ×3, first 2 shown]
	ds_store_b32 v2, v47 offset:7776
	s_waitcnt lgkmcnt(0)
	s_barrier
	buffer_gl0_inv
	ds_load_2addr_b32 v[4:5], v15 offset0:9 offset1:252
	ds_load_2addr_b32 v[10:11], v16 offset0:7 offset1:250
	;; [unrolled: 1-line block ×3, first 2 shown]
	ds_load_b32 v31, v14
	ds_load_b32 v29, v29
	;; [unrolled: 1-line block ×3, first 2 shown]
	v_dual_add_f32 v55, v53, v32 :: v_dual_add_f32 v32, v32, v34
	v_add_f32_e32 v33, v33, v57
	s_waitcnt lgkmcnt(0)
	s_barrier
	s_delay_alu instid0(VALU_DEP_2)
	v_dual_add_f32 v34, v55, v34 :: v_dual_fmac_f32 v53, -0.5, v32
	v_dual_sub_f32 v32, v35, v37 :: v_dual_add_f32 v35, v42, v60
	v_fmamk_f32 v37, v43, 0xbf5db3d7, v52
	v_fmac_f32_e32 v52, 0x3f5db3d7, v43
	buffer_gl0_inv
	v_fmamk_f32 v38, v32, 0xbf5db3d7, v53
	v_fmac_f32_e32 v53, 0x3f5db3d7, v32
	ds_store_2addr_b32 v14, v33, v36 offset1:243
	ds_store_2addr_b32 v48, v51, v35 offset0:6 offset1:249
	ds_store_2addr_b32 v49, v37, v52 offset0:12 offset1:255
	;; [unrolled: 1-line block ×3, first 2 shown]
	ds_store_b32 v2, v53 offset:7776
	s_waitcnt lgkmcnt(0)
	s_barrier
	buffer_gl0_inv
	s_and_saveexec_b32 s0, vcc_lo
	s_cbranch_execz .LBB0_15
; %bb.14:
	v_add_co_u32 v8, vcc_lo, 0x1000, v8
	v_add_co_ci_u32_e32 v9, vcc_lo, 0, v9, vcc_lo
	v_lshlrev_b32_e32 v2, 1, v28
	v_mad_u64_u32 v[48:49], null, s8, v24, 0
	global_load_b128 v[32:35], v[8:9], off offset:1712
	v_sub_nc_u32_e32 v19, 0, v19
	v_lshlrev_b64 v[8:9], 3, v[2:3]
	v_lshlrev_b32_e32 v2, 1, v27
	v_sub_nc_u32_e32 v50, 0, v17
	v_mad_u64_u32 v[27:28], null, s8, v26, 0
	v_add_nc_u32_e32 v52, v13, v19
	v_add_co_u32 v8, vcc_lo, s4, v8
	v_add_co_ci_u32_e32 v9, vcc_lo, s5, v9, vcc_lo
	v_mov_b32_e32 v19, v49
	v_lshlrev_b64 v[2:3], 3, v[2:3]
	s_delay_alu instid0(VALU_DEP_4) | instskip(NEXT) | instid1(VALU_DEP_4)
	v_add_co_u32 v8, vcc_lo, 0x1000, v8
	v_add_co_ci_u32_e32 v9, vcc_lo, 0, v9, vcc_lo
	v_mad_u64_u32 v[44:45], null, s8, v20, 0
	s_delay_alu instid0(VALU_DEP_4) | instskip(SKIP_4) | instid1(VALU_DEP_3)
	v_add_co_u32 v2, vcc_lo, s4, v2
	global_load_b128 v[36:39], v[8:9], off offset:1712
	v_add_co_ci_u32_e32 v3, vcc_lo, s5, v3, vcc_lo
	v_add_co_u32 v2, vcc_lo, 0x1000, v2
	v_mul_hi_u32 v51, 0x59e60383, v22
	v_add_co_ci_u32_e32 v3, vcc_lo, 0, v3, vcc_lo
	v_add_co_u32 v54, vcc_lo, s10, v0
	v_add_co_ci_u32_e32 v55, vcc_lo, s11, v1, vcc_lo
	global_load_b128 v[40:43], v[2:3], off offset:1712
	ds_load_2addr_b32 v[2:3], v16 offset0:7 offset1:250
	ds_load_2addr_b32 v[8:9], v18 offset0:5 offset1:248
	ds_load_2addr_b32 v[15:16], v15 offset0:9 offset1:252
	ds_load_b32 v53, v14
	v_mad_u64_u32 v[17:18], null, s8, v21, 0
	v_mad_u64_u32 v[0:1], null, s8, v25, 0
	v_mad_u64_u32 v[46:47], null, s8, v23, 0
	v_add_nc_u32_e32 v50, v12, v50
	s_delay_alu instid0(VALU_DEP_4)
	v_dual_mov_b32 v13, v28 :: v_dual_mov_b32 v12, v18
	v_mov_b32_e32 v14, v45
	v_lshrrev_b32_e32 v28, 8, v51
	ds_load_b32 v56, v52
	ds_load_b32 v57, v50
	v_mad_u64_u32 v[49:50], null, s9, v21, v[12:13]
	s_waitcnt lgkmcnt(5)
	v_mad_u64_u32 v[50:51], null, s9, v25, v[1:2]
	v_mad_u64_u32 v[51:52], null, s9, v26, v[13:14]
	s_waitcnt lgkmcnt(3)
	v_mad_u64_u32 v[12:13], null, s9, v20, v[14:15]
	v_mad_u32_u24 v52, 0x5b2, v28, v22
	v_mad_u64_u32 v[20:21], null, s9, v24, v[19:20]
	v_mov_b32_e32 v18, v47
	v_mov_b32_e32 v28, v51
	s_delay_alu instid0(VALU_DEP_4) | instskip(SKIP_1) | instid1(VALU_DEP_4)
	v_mad_u64_u32 v[21:22], null, s8, v52, 0
	v_add_nc_u32_e32 v59, 0x5b2, v52
	v_mad_u64_u32 v[13:14], null, s9, v23, v[18:19]
	v_add_nc_u32_e32 v58, 0x2d9, v52
	v_dual_mov_b32 v18, v49 :: v_dual_mov_b32 v49, v20
	v_mov_b32_e32 v14, v22
	v_mad_u64_u32 v[19:20], null, s8, v59, 0
	v_mov_b32_e32 v47, v13
	v_lshlrev_b64 v[23:24], 3, v[27:28]
	v_mov_b32_e32 v45, v12
	v_mad_u64_u32 v[12:13], null, s8, v58, 0
	s_delay_alu instid0(VALU_DEP_4) | instskip(SKIP_4) | instid1(VALU_DEP_3)
	v_lshlrev_b64 v[27:28], 3, v[46:47]
	v_mad_u64_u32 v[46:47], null, s9, v52, v[14:15]
	v_mov_b32_e32 v1, v50
	v_lshlrev_b64 v[25:26], 3, v[44:45]
	v_lshlrev_b64 v[44:45], 3, v[48:49]
	;; [unrolled: 1-line block ×3, first 2 shown]
	v_mov_b32_e32 v22, v46
	s_waitcnt vmcnt(2)
	v_mul_f32_e32 v46, v3, v35
	v_dual_mul_f32 v35, v11, v35 :: v_dual_mov_b32 v14, v20
	s_delay_alu instid0(VALU_DEP_2) | instskip(NEXT) | instid1(VALU_DEP_2)
	v_fma_f32 v11, v11, v34, -v46
	v_fmac_f32_e32 v35, v34, v3
	s_delay_alu instid0(VALU_DEP_3)
	v_mad_u64_u32 v[47:48], null, s9, v58, v[13:14]
	v_mad_u64_u32 v[48:49], null, s9, v59, v[14:15]
	v_mul_f32_e32 v14, v15, v33
	v_mul_f32_e32 v33, v4, v33
	v_lshlrev_b64 v[17:18], 3, v[17:18]
	v_mov_b32_e32 v13, v47
	s_delay_alu instid0(VALU_DEP_3) | instskip(SKIP_1) | instid1(VALU_DEP_4)
	v_fmac_f32_e32 v33, v32, v15
	v_mov_b32_e32 v20, v48
	v_add_co_u32 v17, vcc_lo, v54, v17
	v_add_co_ci_u32_e32 v18, vcc_lo, v55, v18, vcc_lo
	v_add_co_u32 v0, vcc_lo, v54, v0
	v_add_co_ci_u32_e32 v1, vcc_lo, v55, v1, vcc_lo
	;; [unrolled: 2-line block ×4, first 2 shown]
	v_add_co_u32 v27, vcc_lo, v54, v27
	v_add_f32_e32 v15, v33, v35
	v_lshlrev_b64 v[21:22], 3, v[21:22]
	v_add_co_ci_u32_e32 v28, vcc_lo, v55, v28, vcc_lo
	v_add_co_u32 v44, vcc_lo, v54, v44
	v_lshlrev_b64 v[12:13], 3, v[12:13]
	v_add_co_ci_u32_e32 v45, vcc_lo, v55, v45, vcc_lo
	v_lshlrev_b64 v[19:20], 3, v[19:20]
	v_add_co_u32 v21, vcc_lo, v54, v21
	v_add_co_ci_u32_e32 v22, vcc_lo, v55, v22, vcc_lo
	v_add_co_u32 v12, vcc_lo, v54, v12
	v_add_co_ci_u32_e32 v13, vcc_lo, v55, v13, vcc_lo
	v_add_co_u32 v3, vcc_lo, v54, v19
	s_waitcnt lgkmcnt(2)
	v_add_f32_e32 v19, v33, v53
	v_sub_f32_e32 v33, v33, v35
	v_fma_f32 v14, v4, v32, -v14
	v_fma_f32 v15, -0.5, v15, v53
	v_add_co_ci_u32_e32 v4, vcc_lo, v55, v20, vcc_lo
	v_add_f32_e32 v20, v35, v19
	s_delay_alu instid0(VALU_DEP_4) | instskip(SKIP_3) | instid1(VALU_DEP_2)
	v_sub_f32_e32 v34, v14, v11
	v_add_f32_e32 v32, v14, v11
	s_waitcnt vmcnt(1)
	v_dual_add_f32 v46, v31, v14 :: v_dual_mul_f32 v35, v9, v39
	v_fma_f32 v14, -0.5, v32, v31
	s_delay_alu instid0(VALU_DEP_2) | instskip(SKIP_2) | instid1(VALU_DEP_4)
	v_add_f32_e32 v19, v46, v11
	v_mul_f32_e32 v11, v2, v37
	v_mul_f32_e32 v37, v10, v37
	v_fmamk_f32 v31, v33, 0xbf5db3d7, v14
	v_dual_fmac_f32 v14, 0x3f5db3d7, v33 :: v_dual_mul_f32 v39, v7, v39
	v_fmamk_f32 v32, v34, 0x3f5db3d7, v15
	v_fmac_f32_e32 v15, 0xbf5db3d7, v34
	v_fma_f32 v10, v10, v36, -v11
	v_fma_f32 v7, v7, v38, -v35
	v_fmac_f32_e32 v37, v36, v2
	global_store_b64 v[17:18], v[19:20], off
	s_waitcnt vmcnt(0)
	v_dual_mul_f32 v2, v16, v41 :: v_dual_mul_f32 v17, v6, v43
	s_clause 0x1
	global_store_b64 v[0:1], v[14:15], off
	global_store_b64 v[23:24], v[31:32], off
	v_sub_f32_e32 v18, v10, v7
	s_waitcnt lgkmcnt(1)
	v_dual_fmac_f32 v39, v38, v9 :: v_dual_add_f32 v14, v37, v56
	v_mul_f32_e32 v9, v8, v43
	v_mul_f32_e32 v11, v5, v41
	v_add_f32_e32 v15, v10, v7
	v_add_f32_e32 v10, v30, v10
	v_fma_f32 v2, v5, v40, -v2
	v_fma_f32 v9, v6, v42, -v9
	v_dual_fmac_f32 v17, v42, v8 :: v_dual_add_f32 v6, v39, v14
	v_dual_add_f32 v0, v37, v39 :: v_dual_fmac_f32 v11, v40, v16
	s_delay_alu instid0(VALU_DEP_3) | instskip(SKIP_1) | instid1(VALU_DEP_3)
	v_dual_sub_f32 v19, v37, v39 :: v_dual_sub_f32 v16, v2, v9
	v_add_f32_e32 v5, v10, v7
	v_fma_f32 v1, -0.5, v0, v56
	s_waitcnt lgkmcnt(0)
	v_add_f32_e32 v14, v11, v57
	v_fma_f32 v0, -0.5, v15, v30
	v_dual_add_f32 v15, v2, v9 :: v_dual_add_f32 v2, v29, v2
	v_dual_add_f32 v7, v11, v17 :: v_dual_fmamk_f32 v10, v18, 0x3f5db3d7, v1
	v_sub_f32_e32 v11, v11, v17
	v_fmac_f32_e32 v1, 0xbf5db3d7, v18
	s_delay_alu instid0(VALU_DEP_3) | instskip(SKIP_3) | instid1(VALU_DEP_4)
	v_fma_f32 v8, -0.5, v7, v57
	v_fma_f32 v7, -0.5, v15, v29
	v_dual_add_f32 v15, v17, v14 :: v_dual_add_f32 v14, v2, v9
	v_fmamk_f32 v9, v19, 0xbf5db3d7, v0
	v_fmamk_f32 v17, v16, 0x3f5db3d7, v8
	v_fmac_f32_e32 v8, 0xbf5db3d7, v16
	v_fmac_f32_e32 v0, 0x3f5db3d7, v19
	v_fmamk_f32 v16, v11, 0xbf5db3d7, v7
	v_fmac_f32_e32 v7, 0x3f5db3d7, v11
	s_clause 0x5
	global_store_b64 v[25:26], v[14:15], off
	global_store_b64 v[27:28], v[7:8], off
	;; [unrolled: 1-line block ×6, first 2 shown]
.LBB0_15:
	s_nop 0
	s_sendmsg sendmsg(MSG_DEALLOC_VGPRS)
	s_endpgm
	.section	.rodata,"a",@progbits
	.p2align	6, 0x0
	.amdhsa_kernel fft_rtc_fwd_len2187_factors_3_3_3_3_3_3_3_wgs_243_tpt_243_halfLds_sp_ip_CI_sbrr_dirReg
		.amdhsa_group_segment_fixed_size 0
		.amdhsa_private_segment_fixed_size 0
		.amdhsa_kernarg_size 88
		.amdhsa_user_sgpr_count 15
		.amdhsa_user_sgpr_dispatch_ptr 0
		.amdhsa_user_sgpr_queue_ptr 0
		.amdhsa_user_sgpr_kernarg_segment_ptr 1
		.amdhsa_user_sgpr_dispatch_id 0
		.amdhsa_user_sgpr_private_segment_size 0
		.amdhsa_wavefront_size32 1
		.amdhsa_uses_dynamic_stack 0
		.amdhsa_enable_private_segment 0
		.amdhsa_system_sgpr_workgroup_id_x 1
		.amdhsa_system_sgpr_workgroup_id_y 0
		.amdhsa_system_sgpr_workgroup_id_z 0
		.amdhsa_system_sgpr_workgroup_info 0
		.amdhsa_system_vgpr_workitem_id 0
		.amdhsa_next_free_vgpr 71
		.amdhsa_next_free_sgpr 23
		.amdhsa_reserve_vcc 1
		.amdhsa_float_round_mode_32 0
		.amdhsa_float_round_mode_16_64 0
		.amdhsa_float_denorm_mode_32 3
		.amdhsa_float_denorm_mode_16_64 3
		.amdhsa_dx10_clamp 1
		.amdhsa_ieee_mode 1
		.amdhsa_fp16_overflow 0
		.amdhsa_workgroup_processor_mode 1
		.amdhsa_memory_ordered 1
		.amdhsa_forward_progress 0
		.amdhsa_shared_vgpr_count 0
		.amdhsa_exception_fp_ieee_invalid_op 0
		.amdhsa_exception_fp_denorm_src 0
		.amdhsa_exception_fp_ieee_div_zero 0
		.amdhsa_exception_fp_ieee_overflow 0
		.amdhsa_exception_fp_ieee_underflow 0
		.amdhsa_exception_fp_ieee_inexact 0
		.amdhsa_exception_int_div_zero 0
	.end_amdhsa_kernel
	.text
.Lfunc_end0:
	.size	fft_rtc_fwd_len2187_factors_3_3_3_3_3_3_3_wgs_243_tpt_243_halfLds_sp_ip_CI_sbrr_dirReg, .Lfunc_end0-fft_rtc_fwd_len2187_factors_3_3_3_3_3_3_3_wgs_243_tpt_243_halfLds_sp_ip_CI_sbrr_dirReg
                                        ; -- End function
	.section	.AMDGPU.csdata,"",@progbits
; Kernel info:
; codeLenInByte = 8000
; NumSgprs: 25
; NumVgprs: 71
; ScratchSize: 0
; MemoryBound: 0
; FloatMode: 240
; IeeeMode: 1
; LDSByteSize: 0 bytes/workgroup (compile time only)
; SGPRBlocks: 3
; VGPRBlocks: 8
; NumSGPRsForWavesPerEU: 25
; NumVGPRsForWavesPerEU: 71
; Occupancy: 16
; WaveLimiterHint : 1
; COMPUTE_PGM_RSRC2:SCRATCH_EN: 0
; COMPUTE_PGM_RSRC2:USER_SGPR: 15
; COMPUTE_PGM_RSRC2:TRAP_HANDLER: 0
; COMPUTE_PGM_RSRC2:TGID_X_EN: 1
; COMPUTE_PGM_RSRC2:TGID_Y_EN: 0
; COMPUTE_PGM_RSRC2:TGID_Z_EN: 0
; COMPUTE_PGM_RSRC2:TIDIG_COMP_CNT: 0
	.text
	.p2alignl 7, 3214868480
	.fill 96, 4, 3214868480
	.type	__hip_cuid_7db44fd7cf922952,@object ; @__hip_cuid_7db44fd7cf922952
	.section	.bss,"aw",@nobits
	.globl	__hip_cuid_7db44fd7cf922952
__hip_cuid_7db44fd7cf922952:
	.byte	0                               ; 0x0
	.size	__hip_cuid_7db44fd7cf922952, 1

	.ident	"AMD clang version 19.0.0git (https://github.com/RadeonOpenCompute/llvm-project roc-6.4.0 25133 c7fe45cf4b819c5991fe208aaa96edf142730f1d)"
	.section	".note.GNU-stack","",@progbits
	.addrsig
	.addrsig_sym __hip_cuid_7db44fd7cf922952
	.amdgpu_metadata
---
amdhsa.kernels:
  - .args:
      - .actual_access:  read_only
        .address_space:  global
        .offset:         0
        .size:           8
        .value_kind:     global_buffer
      - .offset:         8
        .size:           8
        .value_kind:     by_value
      - .actual_access:  read_only
        .address_space:  global
        .offset:         16
        .size:           8
        .value_kind:     global_buffer
      - .actual_access:  read_only
        .address_space:  global
        .offset:         24
        .size:           8
        .value_kind:     global_buffer
      - .offset:         32
        .size:           8
        .value_kind:     by_value
      - .actual_access:  read_only
        .address_space:  global
        .offset:         40
        .size:           8
        .value_kind:     global_buffer
      - .actual_access:  read_only
        .address_space:  global
        .offset:         48
        .size:           8
        .value_kind:     global_buffer
      - .offset:         56
        .size:           4
        .value_kind:     by_value
      - .actual_access:  read_only
        .address_space:  global
        .offset:         64
        .size:           8
        .value_kind:     global_buffer
      - .actual_access:  read_only
        .address_space:  global
        .offset:         72
        .size:           8
        .value_kind:     global_buffer
      - .address_space:  global
        .offset:         80
        .size:           8
        .value_kind:     global_buffer
    .group_segment_fixed_size: 0
    .kernarg_segment_align: 8
    .kernarg_segment_size: 88
    .language:       OpenCL C
    .language_version:
      - 2
      - 0
    .max_flat_workgroup_size: 243
    .name:           fft_rtc_fwd_len2187_factors_3_3_3_3_3_3_3_wgs_243_tpt_243_halfLds_sp_ip_CI_sbrr_dirReg
    .private_segment_fixed_size: 0
    .sgpr_count:     25
    .sgpr_spill_count: 0
    .symbol:         fft_rtc_fwd_len2187_factors_3_3_3_3_3_3_3_wgs_243_tpt_243_halfLds_sp_ip_CI_sbrr_dirReg.kd
    .uniform_work_group_size: 1
    .uses_dynamic_stack: false
    .vgpr_count:     71
    .vgpr_spill_count: 0
    .wavefront_size: 32
    .workgroup_processor_mode: 1
amdhsa.target:   amdgcn-amd-amdhsa--gfx1100
amdhsa.version:
  - 1
  - 2
...

	.end_amdgpu_metadata
